;; amdgpu-corpus repo=ROCm/rocFFT kind=compiled arch=gfx906 opt=O3
	.text
	.amdgcn_target "amdgcn-amd-amdhsa--gfx906"
	.amdhsa_code_object_version 6
	.protected	fft_rtc_fwd_len200_factors_10_2_10_wgs_200_tpt_20_dim3_dp_ip_CI_sbcc_twdbase8_2step_dirReg ; -- Begin function fft_rtc_fwd_len200_factors_10_2_10_wgs_200_tpt_20_dim3_dp_ip_CI_sbcc_twdbase8_2step_dirReg
	.globl	fft_rtc_fwd_len200_factors_10_2_10_wgs_200_tpt_20_dim3_dp_ip_CI_sbcc_twdbase8_2step_dirReg
	.p2align	8
	.type	fft_rtc_fwd_len200_factors_10_2_10_wgs_200_tpt_20_dim3_dp_ip_CI_sbcc_twdbase8_2step_dirReg,@function
fft_rtc_fwd_len200_factors_10_2_10_wgs_200_tpt_20_dim3_dp_ip_CI_sbcc_twdbase8_2step_dirReg: ; @fft_rtc_fwd_len200_factors_10_2_10_wgs_200_tpt_20_dim3_dp_ip_CI_sbcc_twdbase8_2step_dirReg
; %bb.0:
	s_load_dwordx4 s[0:3], s[4:5], 0x10
	s_mov_b32 s7, 0
	s_mov_b64 s[18:19], 0
	s_waitcnt lgkmcnt(0)
	s_load_dwordx2 s[24:25], s[0:1], 0x8
	s_waitcnt lgkmcnt(0)
	s_add_u32 s8, s24, -1
	s_addc_u32 s9, s25, -1
	s_add_u32 s10, 0, 0x99986000
	s_addc_u32 s11, 0, 0x59
	s_mul_hi_u32 s13, s10, -10
	s_add_i32 s11, s11, 0x19999940
	s_sub_i32 s13, s13, s10
	s_mul_i32 s16, s11, -10
	s_mul_i32 s12, s10, -10
	s_add_i32 s13, s13, s16
	s_mul_hi_u32 s14, s11, s12
	s_mul_i32 s15, s11, s12
	s_mul_i32 s17, s10, s13
	s_mul_hi_u32 s12, s10, s12
	s_mul_hi_u32 s16, s10, s13
	s_add_u32 s12, s12, s17
	s_addc_u32 s16, 0, s16
	s_add_u32 s12, s12, s15
	s_mul_hi_u32 s17, s11, s13
	s_addc_u32 s12, s16, s14
	s_addc_u32 s14, s17, 0
	s_mul_i32 s13, s11, s13
	s_add_u32 s12, s12, s13
	v_mov_b32_e32 v1, s12
	s_addc_u32 s13, 0, s14
	v_add_co_u32_e32 v1, vcc, s10, v1
	s_cmp_lg_u64 vcc, 0
	s_addc_u32 s10, s11, s13
	v_readfirstlane_b32 s13, v1
	s_mul_i32 s12, s8, s10
	s_mul_hi_u32 s14, s8, s13
	s_mul_hi_u32 s11, s8, s10
	s_add_u32 s12, s14, s12
	s_addc_u32 s11, 0, s11
	s_mul_hi_u32 s15, s9, s13
	s_mul_i32 s13, s9, s13
	s_add_u32 s12, s12, s13
	s_mul_hi_u32 s14, s9, s10
	s_addc_u32 s11, s11, s15
	s_addc_u32 s12, s14, 0
	s_mul_i32 s10, s9, s10
	s_add_u32 s10, s11, s10
	s_addc_u32 s11, 0, s12
	s_add_u32 s12, s10, 1
	s_addc_u32 s13, s11, 0
	s_add_u32 s14, s10, 2
	s_mul_i32 s16, s11, 10
	s_mul_hi_u32 s17, s10, 10
	s_addc_u32 s15, s11, 0
	s_add_i32 s17, s17, s16
	s_mul_i32 s16, s10, 10
	v_mov_b32_e32 v1, s16
	v_sub_co_u32_e32 v1, vcc, s8, v1
	s_cmp_lg_u64 vcc, 0
	s_subb_u32 s8, s9, s17
	v_subrev_co_u32_e32 v2, vcc, 10, v1
	s_cmp_lg_u64 vcc, 0
	s_subb_u32 s9, s8, 0
	v_readfirstlane_b32 s16, v2
	s_cmp_gt_u32 s16, 9
	s_cselect_b32 s16, -1, 0
	s_cmp_eq_u32 s9, 0
	s_cselect_b32 s9, s16, -1
	s_cmp_lg_u32 s9, 0
	s_cselect_b32 s9, s14, s12
	s_cselect_b32 s12, s15, s13
	v_readfirstlane_b32 s13, v1
	s_cmp_gt_u32 s13, 9
	s_cselect_b32 s13, -1, 0
	s_cmp_eq_u32 s8, 0
	s_cselect_b32 s8, s13, -1
	s_cmp_lg_u32 s8, 0
	s_cselect_b32 s9, s9, s10
	s_cselect_b32 s8, s12, s11
	s_add_u32 s16, s9, 1
	s_addc_u32 s17, s8, 0
	v_mov_b32_e32 v1, s16
	v_mov_b32_e32 v2, s17
	v_cmp_lt_u64_e32 vcc, s[6:7], v[1:2]
	s_cbranch_vccnz .LBB0_2
; %bb.1:
	v_cvt_f32_u32_e32 v1, s16
	s_sub_i32 s8, 0, s16
	s_mov_b32 s19, s7
	v_rcp_iflag_f32_e32 v1, v1
	v_mul_f32_e32 v1, 0x4f7ffffe, v1
	v_cvt_u32_f32_e32 v1, v1
	v_readfirstlane_b32 s9, v1
	s_mul_i32 s8, s8, s9
	s_mul_hi_u32 s8, s9, s8
	s_add_i32 s9, s9, s8
	s_mul_hi_u32 s8, s6, s9
	s_mul_i32 s10, s8, s16
	s_sub_i32 s10, s6, s10
	s_add_i32 s9, s8, 1
	s_sub_i32 s11, s10, s16
	s_cmp_ge_u32 s10, s16
	s_cselect_b32 s8, s9, s8
	s_cselect_b32 s10, s11, s10
	s_add_i32 s9, s8, 1
	s_cmp_ge_u32 s10, s16
	s_cselect_b32 s18, s9, s8
.LBB0_2:
	s_load_dwordx2 s[8:9], s[0:1], 0x10
	s_load_dwordx2 s[10:11], s[2:3], 0x8
	s_mov_b64 s[0:1], s[18:19]
	s_waitcnt lgkmcnt(0)
	v_mov_b32_e32 v1, s8
	v_mov_b32_e32 v2, s9
	v_cmp_lt_u64_e32 vcc, s[18:19], v[1:2]
	s_cbranch_vccnz .LBB0_4
; %bb.3:
	v_cvt_f32_u32_e32 v1, s8
	s_sub_i32 s0, 0, s8
	v_rcp_iflag_f32_e32 v1, v1
	v_mul_f32_e32 v1, 0x4f7ffffe, v1
	v_cvt_u32_f32_e32 v1, v1
	v_readfirstlane_b32 s1, v1
	s_mul_i32 s0, s0, s1
	s_mul_hi_u32 s0, s1, s0
	s_add_i32 s1, s1, s0
	s_mul_hi_u32 s0, s18, s1
	s_mul_i32 s0, s0, s8
	s_sub_i32 s0, s18, s0
	s_sub_i32 s1, s0, s8
	s_cmp_ge_u32 s0, s8
	s_cselect_b32 s0, s1, s0
	s_sub_i32 s1, s0, s8
	s_cmp_ge_u32 s0, s8
	s_cselect_b32 s0, s1, s0
.LBB0_4:
	s_mul_i32 s1, s8, s17
	s_mul_hi_u32 s14, s8, s16
	s_add_i32 s1, s14, s1
	s_mul_i32 s9, s9, s16
	s_mul_i32 s14, s8, s16
	s_load_dwordx2 s[12:13], s[4:5], 0x50
	s_add_i32 s15, s1, s9
	s_load_dwordx2 s[8:9], s[2:3], 0x0
	s_load_dwordx2 s[20:21], s[2:3], 0x10
	v_mov_b32_e32 v1, s14
	v_mov_b32_e32 v2, s15
	v_cmp_lt_u64_e32 vcc, s[6:7], v[1:2]
	s_mov_b64 s[22:23], 0
	s_cbranch_vccnz .LBB0_6
; %bb.5:
	v_cvt_f32_u32_e32 v1, s14
	s_sub_i32 s1, 0, s14
	v_rcp_iflag_f32_e32 v1, v1
	v_mul_f32_e32 v1, 0x4f7ffffe, v1
	v_cvt_u32_f32_e32 v1, v1
	v_readfirstlane_b32 s7, v1
	s_mul_i32 s1, s1, s7
	s_mul_hi_u32 s1, s7, s1
	s_add_i32 s7, s7, s1
	s_mul_hi_u32 s1, s6, s7
	s_mul_i32 s15, s1, s14
	s_sub_i32 s15, s6, s15
	s_add_i32 s7, s1, 1
	s_sub_i32 s19, s15, s14
	s_cmp_ge_u32 s15, s14
	s_cselect_b32 s1, s7, s1
	s_cselect_b32 s15, s19, s15
	s_add_i32 s7, s1, 1
	s_cmp_ge_u32 s15, s14
	s_cselect_b32 s22, s7, s1
.LBB0_6:
	s_mul_i32 s1, s18, s17
	s_mul_hi_u32 s7, s18, s16
	s_add_i32 s7, s7, s1
	s_mul_i32 s1, s18, s16
	s_sub_u32 s1, s6, s1
	s_subb_u32 s6, 0, s7
	s_mul_i32 s6, s6, 10
	s_mul_hi_u32 s7, s1, 10
	s_load_dwordx2 s[2:3], s[2:3], 0x18
	s_add_i32 s6, s7, s6
	s_mul_i32 s1, s1, 10
	s_mul_i32 s7, s10, s6
	s_mul_hi_u32 s16, s10, s1
	s_add_i32 s7, s16, s7
	s_mul_i32 s16, s11, s1
	s_waitcnt lgkmcnt(0)
	s_mul_i32 s17, s21, s0
	s_mul_hi_u32 s18, s20, s0
	s_add_i32 s7, s7, s16
	s_mul_i32 s16, s10, s1
	s_add_i32 s18, s18, s17
	s_mul_i32 s0, s20, s0
	v_mul_u32_u24_e32 v1, 0x199a, v0
	s_add_u32 s0, s0, s16
	s_mul_i32 s3, s3, s22
	s_mul_hi_u32 s16, s2, s22
	v_lshrrev_b32_e32 v43, 16, v1
	s_addc_u32 s7, s18, s7
	s_add_i32 s16, s16, s3
	s_mul_i32 s2, s2, s22
	v_mul_lo_u16_e32 v1, 10, v43
	s_add_u32 s2, s2, s0
	v_sub_u16_e32 v50, v0, v1
	s_addc_u32 s3, s16, s7
	v_mov_b32_e32 v1, s6
	v_add_co_u32_e32 v41, vcc, s1, v50
	s_load_dwordx2 s[14:15], s[4:5], 0x0
	v_addc_co_u32_e32 v42, vcc, 0, v1, vcc
	s_add_u32 s0, s1, 10
	v_mov_b32_e32 v1, s24
	s_addc_u32 s1, s6, 0
	v_mov_b32_e32 v2, s25
	v_cmp_gt_u64_e32 vcc, s[0:1], v[1:2]
	v_cmp_le_u64_e64 s[0:1], s[0:1], v[1:2]
	s_cbranch_vccz .LBB0_12
; %bb.7:
	v_cmp_le_u64_e32 vcc, s[24:25], v[41:42]
                                        ; implicit-def: $vgpr44
                                        ; implicit-def: $vgpr45
                                        ; implicit-def: $vgpr46
                                        ; implicit-def: $vgpr47
	s_and_saveexec_b64 s[6:7], vcc
	s_xor_b64 s[6:7], exec, s[6:7]
; %bb.8:
	v_add_u32_e32 v44, 20, v43
	v_add_u32_e32 v45, 40, v43
	v_add_u32_e32 v46, 60, v43
	v_add_u32_e32 v47, 0x50, v43
; %bb.9:
	s_or_saveexec_b64 s[6:7], s[6:7]
                                        ; implicit-def: $vgpr9_vgpr10
                                        ; implicit-def: $vgpr1_vgpr2
                                        ; implicit-def: $vgpr13_vgpr14
                                        ; implicit-def: $vgpr5_vgpr6
                                        ; implicit-def: $vgpr29_vgpr30
                                        ; implicit-def: $vgpr17_vgpr18
                                        ; implicit-def: $vgpr33_vgpr34
                                        ; implicit-def: $vgpr21_vgpr22
                                        ; implicit-def: $vgpr37_vgpr38
                                        ; implicit-def: $vgpr25_vgpr26
	s_xor_b64 exec, exec, s[6:7]
	s_cbranch_execz .LBB0_11
; %bb.10:
	v_mad_u64_u32 v[1:2], s[16:17], s10, v50, 0
	v_mad_u64_u32 v[3:4], s[16:17], s8, v43, 0
	v_add_u32_e32 v44, 20, v43
	v_add_u32_e32 v45, 40, v43
	v_mad_u64_u32 v[5:6], s[16:17], s11, v50, v[2:3]
	v_mov_b32_e32 v2, v4
	v_mad_u64_u32 v[6:7], s[16:17], s9, v43, v[2:3]
	s_lshl_b64 s[16:17], s[2:3], 4
	s_add_u32 s18, s12, s16
	s_addc_u32 s16, s13, s17
	v_mov_b32_e32 v2, v5
	v_mov_b32_e32 v4, v6
	;; [unrolled: 1-line block ×3, first 2 shown]
	v_mad_u64_u32 v[5:6], s[16:17], s8, v44, 0
	v_lshlrev_b64 v[1:2], 4, v[1:2]
	v_add_u32_e32 v46, 60, v43
	v_add_co_u32_e32 v53, vcc, s18, v1
	v_addc_co_u32_e32 v54, vcc, v7, v2, vcc
	v_lshlrev_b64 v[1:2], 4, v[3:4]
	v_mov_b32_e32 v3, v6
	v_mad_u64_u32 v[3:4], s[16:17], s9, v44, v[3:4]
	v_add_co_u32_e32 v7, vcc, v53, v1
	v_mov_b32_e32 v6, v3
	v_addc_co_u32_e32 v8, vcc, v54, v2, vcc
	v_lshlrev_b64 v[1:2], 4, v[5:6]
	v_mad_u64_u32 v[5:6], s[16:17], s8, v45, 0
	v_add_co_u32_e32 v13, vcc, v53, v1
	v_mov_b32_e32 v1, v6
	v_mad_u64_u32 v[15:16], s[16:17], s9, v45, v[1:2]
	v_mad_u64_u32 v[16:17], s[16:17], s8, v46, 0
	v_addc_co_u32_e32 v14, vcc, v54, v2, vcc
	global_load_dwordx4 v[9:12], v[7:8], off
	global_load_dwordx4 v[1:4], v[13:14], off
	v_mov_b32_e32 v7, v17
	v_mad_u64_u32 v[7:8], s[16:17], s9, v46, v[7:8]
	v_mov_b32_e32 v6, v15
	v_lshlrev_b64 v[5:6], 4, v[5:6]
	v_add_u32_e32 v47, 0x50, v43
	v_mad_u64_u32 v[20:21], s[16:17], s8, v47, 0
	v_add_co_u32_e32 v18, vcc, v53, v5
	v_mov_b32_e32 v17, v7
	v_addc_co_u32_e32 v19, vcc, v54, v6, vcc
	v_lshlrev_b64 v[5:6], 4, v[16:17]
	v_add_u32_e32 v27, 0x64, v43
	v_add_co_u32_e32 v22, vcc, v53, v5
	v_mov_b32_e32 v5, v21
	v_mad_u64_u32 v[24:25], s[16:17], s9, v47, v[5:6]
	v_mad_u64_u32 v[25:26], s[16:17], s8, v27, 0
	v_addc_co_u32_e32 v23, vcc, v54, v6, vcc
	global_load_dwordx4 v[13:16], v[18:19], off
	global_load_dwordx4 v[5:8], v[22:23], off
	v_mov_b32_e32 v21, v24
	v_mov_b32_e32 v19, v26
	v_lshlrev_b64 v[17:18], 4, v[20:21]
	v_mad_u64_u32 v[19:20], s[16:17], s9, v27, v[19:20]
	v_add_co_u32_e32 v21, vcc, v53, v17
	v_mov_b32_e32 v26, v19
	v_add_u32_e32 v19, 0x78, v43
	v_mad_u64_u32 v[23:24], s[16:17], s8, v19, 0
	v_addc_co_u32_e32 v22, vcc, v54, v18, vcc
	v_lshlrev_b64 v[17:18], 4, v[25:26]
	v_add_co_u32_e32 v25, vcc, v53, v17
	v_mov_b32_e32 v17, v24
	v_mad_u64_u32 v[27:28], s[16:17], s9, v19, v[17:18]
	v_add_u32_e32 v28, 0x8c, v43
	v_mad_u64_u32 v[33:34], s[16:17], s8, v28, 0
	v_mov_b32_e32 v24, v27
	v_addc_co_u32_e32 v26, vcc, v54, v18, vcc
	global_load_dwordx4 v[29:32], v[21:22], off
	global_load_dwordx4 v[17:20], v[25:26], off
	v_lshlrev_b64 v[21:22], 4, v[23:24]
	v_mov_b32_e32 v23, v34
	v_mad_u64_u32 v[23:24], s[16:17], s9, v28, v[23:24]
	v_add_co_u32_e32 v25, vcc, v53, v21
	v_mov_b32_e32 v34, v23
	v_or_b32_e32 v23, 0xa0, v43
	v_mad_u64_u32 v[27:28], s[16:17], s8, v23, 0
	v_addc_co_u32_e32 v26, vcc, v54, v22, vcc
	v_lshlrev_b64 v[21:22], 4, v[33:34]
	v_add_co_u32_e32 v37, vcc, v53, v21
	v_mov_b32_e32 v21, v28
	v_mad_u64_u32 v[39:40], s[16:17], s9, v23, v[21:22]
	v_add_u32_e32 v40, 0xb4, v43
	v_mad_u64_u32 v[48:49], s[16:17], s8, v40, 0
	v_mov_b32_e32 v28, v39
	v_addc_co_u32_e32 v38, vcc, v54, v22, vcc
	global_load_dwordx4 v[33:36], v[25:26], off
	global_load_dwordx4 v[21:24], v[37:38], off
	v_lshlrev_b64 v[25:26], 4, v[27:28]
	v_mov_b32_e32 v27, v49
	v_mad_u64_u32 v[27:28], s[16:17], s9, v40, v[27:28]
	v_add_co_u32_e32 v51, vcc, v53, v25
	v_mov_b32_e32 v49, v27
	v_addc_co_u32_e32 v52, vcc, v54, v26, vcc
	v_lshlrev_b64 v[25:26], 4, v[48:49]
	v_add_co_u32_e32 v48, vcc, v53, v25
	v_addc_co_u32_e32 v49, vcc, v54, v26, vcc
	global_load_dwordx4 v[37:40], v[51:52], off
	global_load_dwordx4 v[25:28], v[48:49], off
.LBB0_11:
	s_or_b64 exec, exec, s[6:7]
	s_cbranch_execz .LBB0_13
	s_branch .LBB0_14
.LBB0_12:
                                        ; implicit-def: $vgpr9_vgpr10
                                        ; implicit-def: $vgpr1_vgpr2
                                        ; implicit-def: $vgpr13_vgpr14
                                        ; implicit-def: $vgpr5_vgpr6
                                        ; implicit-def: $vgpr44
                                        ; implicit-def: $vgpr45
                                        ; implicit-def: $vgpr46
                                        ; implicit-def: $vgpr47
                                        ; implicit-def: $vgpr29_vgpr30
                                        ; implicit-def: $vgpr17_vgpr18
                                        ; implicit-def: $vgpr33_vgpr34
                                        ; implicit-def: $vgpr21_vgpr22
                                        ; implicit-def: $vgpr37_vgpr38
                                        ; implicit-def: $vgpr25_vgpr26
.LBB0_13:
	s_waitcnt vmcnt(8)
	v_mad_u64_u32 v[1:2], s[6:7], s10, v50, 0
	v_mad_u64_u32 v[3:4], s[6:7], s8, v43, 0
	v_add_u32_e32 v44, 20, v43
	v_add_u32_e32 v45, 40, v43
	s_waitcnt vmcnt(6)
	v_mad_u64_u32 v[5:6], s[6:7], s11, v50, v[2:3]
	v_mov_b32_e32 v2, v4
	v_mad_u64_u32 v[6:7], s[6:7], s9, v43, v[2:3]
	s_lshl_b64 s[6:7], s[2:3], 4
	s_add_u32 s16, s12, s6
	s_addc_u32 s6, s13, s7
	v_mov_b32_e32 v2, v5
	v_mov_b32_e32 v4, v6
	;; [unrolled: 1-line block ×3, first 2 shown]
	v_mad_u64_u32 v[5:6], s[6:7], s8, v44, 0
	v_lshlrev_b64 v[1:2], 4, v[1:2]
	v_add_u32_e32 v46, 60, v43
	v_add_co_u32_e32 v53, vcc, s16, v1
	v_addc_co_u32_e32 v54, vcc, v7, v2, vcc
	v_lshlrev_b64 v[1:2], 4, v[3:4]
	v_mov_b32_e32 v3, v6
	v_mad_u64_u32 v[3:4], s[6:7], s9, v44, v[3:4]
	v_add_co_u32_e32 v7, vcc, v53, v1
	v_mov_b32_e32 v6, v3
	v_addc_co_u32_e32 v8, vcc, v54, v2, vcc
	v_lshlrev_b64 v[1:2], 4, v[5:6]
	v_mad_u64_u32 v[5:6], s[6:7], s8, v45, 0
	v_add_co_u32_e32 v13, vcc, v53, v1
	v_mov_b32_e32 v1, v6
	v_mad_u64_u32 v[15:16], s[6:7], s9, v45, v[1:2]
	s_waitcnt vmcnt(4)
	v_mad_u64_u32 v[16:17], s[6:7], s8, v46, 0
	v_addc_co_u32_e32 v14, vcc, v54, v2, vcc
	global_load_dwordx4 v[9:12], v[7:8], off
	global_load_dwordx4 v[1:4], v[13:14], off
	v_mov_b32_e32 v7, v17
	v_mad_u64_u32 v[7:8], s[6:7], s9, v46, v[7:8]
	v_mov_b32_e32 v6, v15
	v_lshlrev_b64 v[5:6], 4, v[5:6]
	v_add_u32_e32 v47, 0x50, v43
	s_waitcnt vmcnt(4)
	v_mad_u64_u32 v[20:21], s[6:7], s8, v47, 0
	v_add_co_u32_e32 v18, vcc, v53, v5
	v_mov_b32_e32 v17, v7
	v_addc_co_u32_e32 v19, vcc, v54, v6, vcc
	v_lshlrev_b64 v[5:6], 4, v[16:17]
	s_waitcnt vmcnt(2)
	v_add_u32_e32 v27, 0x64, v43
	v_add_co_u32_e32 v22, vcc, v53, v5
	v_mov_b32_e32 v5, v21
	v_mad_u64_u32 v[24:25], s[6:7], s9, v47, v[5:6]
	v_mad_u64_u32 v[25:26], s[6:7], s8, v27, 0
	v_addc_co_u32_e32 v23, vcc, v54, v6, vcc
	global_load_dwordx4 v[13:16], v[18:19], off
	global_load_dwordx4 v[5:8], v[22:23], off
	v_mov_b32_e32 v21, v24
	v_mov_b32_e32 v19, v26
	v_lshlrev_b64 v[17:18], 4, v[20:21]
	v_mad_u64_u32 v[19:20], s[6:7], s9, v27, v[19:20]
	v_add_co_u32_e32 v21, vcc, v53, v17
	v_mov_b32_e32 v26, v19
	v_add_u32_e32 v19, 0x78, v43
	v_mad_u64_u32 v[23:24], s[6:7], s8, v19, 0
	v_addc_co_u32_e32 v22, vcc, v54, v18, vcc
	v_lshlrev_b64 v[17:18], 4, v[25:26]
	v_add_co_u32_e32 v25, vcc, v53, v17
	v_mov_b32_e32 v17, v24
	v_mad_u64_u32 v[27:28], s[6:7], s9, v19, v[17:18]
	v_add_u32_e32 v28, 0x8c, v43
	v_mad_u64_u32 v[33:34], s[6:7], s8, v28, 0
	v_mov_b32_e32 v24, v27
	v_addc_co_u32_e32 v26, vcc, v54, v18, vcc
	global_load_dwordx4 v[29:32], v[21:22], off
	global_load_dwordx4 v[17:20], v[25:26], off
	v_lshlrev_b64 v[21:22], 4, v[23:24]
	v_mov_b32_e32 v23, v34
	v_mad_u64_u32 v[23:24], s[6:7], s9, v28, v[23:24]
	v_add_co_u32_e32 v25, vcc, v53, v21
	v_mov_b32_e32 v34, v23
	v_or_b32_e32 v23, 0xa0, v43
	v_mad_u64_u32 v[27:28], s[6:7], s8, v23, 0
	v_addc_co_u32_e32 v26, vcc, v54, v22, vcc
	v_lshlrev_b64 v[21:22], 4, v[33:34]
	v_add_co_u32_e32 v37, vcc, v53, v21
	v_mov_b32_e32 v21, v28
	v_mad_u64_u32 v[39:40], s[6:7], s9, v23, v[21:22]
	v_add_u32_e32 v40, 0xb4, v43
	v_mad_u64_u32 v[48:49], s[6:7], s8, v40, 0
	v_mov_b32_e32 v28, v39
	v_addc_co_u32_e32 v38, vcc, v54, v22, vcc
	global_load_dwordx4 v[33:36], v[25:26], off
	global_load_dwordx4 v[21:24], v[37:38], off
	v_lshlrev_b64 v[25:26], 4, v[27:28]
	v_mov_b32_e32 v27, v49
	v_mad_u64_u32 v[27:28], s[6:7], s9, v40, v[27:28]
	v_add_co_u32_e32 v51, vcc, v53, v25
	v_mov_b32_e32 v49, v27
	v_addc_co_u32_e32 v52, vcc, v54, v26, vcc
	v_lshlrev_b64 v[25:26], 4, v[48:49]
	v_add_co_u32_e32 v48, vcc, v53, v25
	v_addc_co_u32_e32 v49, vcc, v54, v26, vcc
	global_load_dwordx4 v[37:40], v[51:52], off
	global_load_dwordx4 v[25:28], v[48:49], off
.LBB0_14:
	s_waitcnt vmcnt(3)
	v_add_f64 v[48:49], v[33:34], v[29:30]
	s_waitcnt vmcnt(1)
	v_add_f64 v[51:52], v[15:16], -v[39:40]
	v_add_f64 v[55:56], v[37:38], v[13:14]
	s_mov_b32 s18, 0x134454ff
	s_mov_b32 s19, 0x3fee6f0e
	;; [unrolled: 1-line block ×4, first 2 shown]
	v_add_f64 v[53:54], v[13:14], -v[29:30]
	v_fma_f64 v[48:49], v[48:49], -0.5, v[9:10]
	v_add_f64 v[57:58], v[37:38], -v[33:34]
	v_add_f64 v[59:60], v[31:32], -v[35:36]
	v_fma_f64 v[55:56], v[55:56], -0.5, v[9:10]
	v_add_f64 v[61:62], v[29:30], -v[13:14]
	v_add_f64 v[63:64], v[33:34], -v[37:38]
	v_add_f64 v[9:10], v[13:14], v[9:10]
	s_mov_b32 s6, 0x4755a5e
	v_fma_f64 v[65:66], v[51:52], s[18:19], v[48:49]
	v_fma_f64 v[48:49], v[51:52], s[22:23], v[48:49]
	s_mov_b32 s7, 0x3fe2cf23
	s_mov_b32 s17, 0xbfe2cf23
	;; [unrolled: 1-line block ×3, first 2 shown]
	v_add_f64 v[67:68], v[35:36], v[31:32]
	v_fma_f64 v[69:70], v[59:60], s[22:23], v[55:56]
	v_add_f64 v[53:54], v[57:58], v[53:54]
	v_fma_f64 v[55:56], v[59:60], s[18:19], v[55:56]
	v_fma_f64 v[57:58], v[59:60], s[6:7], v[65:66]
	v_add_f64 v[65:66], v[39:40], v[15:16]
	v_fma_f64 v[48:49], v[59:60], s[16:17], v[48:49]
	v_add_f64 v[59:60], v[63:64], v[61:62]
	v_add_f64 v[63:64], v[15:16], v[11:12]
	;; [unrolled: 1-line block ×3, first 2 shown]
	v_fma_f64 v[61:62], v[51:52], s[6:7], v[69:70]
	v_fma_f64 v[51:52], v[51:52], s[16:17], v[55:56]
	v_fma_f64 v[55:56], v[67:68], -0.5, v[11:12]
	v_fma_f64 v[11:12], v[65:66], -0.5, v[11:12]
	v_add_f64 v[13:14], v[13:14], -v[37:38]
	v_add_f64 v[29:30], v[29:30], -v[33:34]
	v_add_f64 v[63:64], v[31:32], v[63:64]
	v_add_f64 v[9:10], v[33:34], v[9:10]
	s_mov_b32 s20, 0x372fe950
	s_mov_b32 s21, 0x3fd3c6ef
	v_fma_f64 v[57:58], v[53:54], s[20:21], v[57:58]
	v_fma_f64 v[48:49], v[53:54], s[20:21], v[48:49]
	;; [unrolled: 1-line block ×4, first 2 shown]
	v_add_f64 v[59:60], v[15:16], -v[31:32]
	v_add_f64 v[33:34], v[35:36], v[63:64]
	v_add_f64 v[15:16], v[31:32], -v[15:16]
	v_add_f64 v[31:32], v[39:40], -v[35:36]
	;; [unrolled: 1-line block ×3, first 2 shown]
	v_fma_f64 v[61:62], v[13:14], s[22:23], v[55:56]
	v_fma_f64 v[55:56], v[13:14], s[18:19], v[55:56]
	;; [unrolled: 1-line block ×3, first 2 shown]
	v_add_f64 v[37:38], v[37:38], v[9:10]
	v_fma_f64 v[9:10], v[29:30], s[22:23], v[11:12]
	v_add_f64 v[11:12], v[21:22], v[17:18]
	v_add_f64 v[33:34], v[39:40], v[33:34]
	;; [unrolled: 1-line block ×3, first 2 shown]
	v_fma_f64 v[39:40], v[29:30], s[16:17], v[61:62]
	v_fma_f64 v[29:30], v[29:30], s[6:7], v[55:56]
	;; [unrolled: 1-line block ×3, first 2 shown]
	v_add_f64 v[15:16], v[35:36], v[15:16]
	s_waitcnt vmcnt(0)
	v_add_f64 v[35:36], v[25:26], v[5:6]
	v_fma_f64 v[9:10], v[13:14], s[6:7], v[9:10]
	v_fma_f64 v[11:12], v[11:12], -0.5, v[1:2]
	v_add_f64 v[13:14], v[7:8], -v[27:28]
	v_add_f64 v[59:60], v[5:6], -v[17:18]
	;; [unrolled: 1-line block ×3, first 2 shown]
	v_fma_f64 v[39:40], v[31:32], s[20:21], v[39:40]
	v_add_f64 v[63:64], v[19:20], -v[23:24]
	v_fma_f64 v[35:36], v[35:36], -0.5, v[1:2]
	v_fma_f64 v[65:66], v[31:32], s[20:21], v[29:30]
	v_fma_f64 v[31:32], v[15:16], s[20:21], v[55:56]
	;; [unrolled: 1-line block ×5, first 2 shown]
	v_add_f64 v[15:16], v[17:18], -v[5:6]
	v_add_f64 v[29:30], v[21:22], -v[25:26]
	v_fma_f64 v[67:68], v[63:64], s[22:23], v[35:36]
	v_add_f64 v[59:60], v[61:62], v[59:60]
	v_fma_f64 v[35:36], v[63:64], s[18:19], v[35:36]
	v_add_f64 v[61:62], v[23:24], v[19:20]
	v_add_f64 v[69:70], v[27:28], v[7:8]
	v_fma_f64 v[9:10], v[63:64], s[6:7], v[9:10]
	v_fma_f64 v[11:12], v[63:64], s[16:17], v[11:12]
	v_add_f64 v[1:2], v[5:6], v[1:2]
	v_add_f64 v[15:16], v[29:30], v[15:16]
	v_fma_f64 v[29:30], v[13:14], s[6:7], v[67:68]
	v_fma_f64 v[13:14], v[13:14], s[16:17], v[35:36]
	v_fma_f64 v[35:36], v[61:62], -0.5, v[3:4]
	v_fma_f64 v[61:62], v[69:70], -0.5, v[3:4]
	v_add_f64 v[3:4], v[7:8], v[3:4]
	v_fma_f64 v[9:10], v[59:60], s[20:21], v[9:10]
	v_fma_f64 v[11:12], v[59:60], s[20:21], v[11:12]
	v_add_f64 v[1:2], v[17:18], v[1:2]
	v_add_f64 v[59:60], v[7:8], -v[19:20]
	v_add_f64 v[63:64], v[27:28], -v[23:24]
	;; [unrolled: 1-line block ×5, first 2 shown]
	v_add_f64 v[3:4], v[19:20], v[3:4]
	v_add_f64 v[19:20], v[23:24], -v[27:28]
	v_add_f64 v[1:2], v[21:22], v[1:2]
	v_fma_f64 v[29:30], v[15:16], s[20:21], v[29:30]
	v_add_f64 v[21:22], v[63:64], v[59:60]
	v_fma_f64 v[59:60], v[17:18], s[18:19], v[61:62]
	v_fma_f64 v[61:62], v[17:18], s[22:23], v[61:62]
	;; [unrolled: 1-line block ×5, first 2 shown]
	v_add_f64 v[7:8], v[19:20], v[7:8]
	v_add_f64 v[15:16], v[25:26], v[1:2]
	;; [unrolled: 1-line block ×3, first 2 shown]
	v_fma_f64 v[1:2], v[5:6], s[16:17], v[59:60]
	v_fma_f64 v[5:6], v[5:6], s[6:7], v[61:62]
	;; [unrolled: 1-line block ×4, first 2 shown]
	s_mov_b32 s26, 0x9b97f4a8
	s_mov_b32 s27, 0x3fe9e377
	v_mul_f64 v[23:24], v[9:10], s[26:27]
	v_add_f64 v[25:26], v[27:28], v[3:4]
	v_fma_f64 v[3:4], v[7:8], s[20:21], v[1:2]
	v_fma_f64 v[5:6], v[7:8], s[20:21], v[5:6]
	;; [unrolled: 1-line block ×4, first 2 shown]
	v_mul_f64 v[9:10], v[9:10], s[16:17]
	v_mul_f64 v[1:2], v[29:30], s[20:21]
	;; [unrolled: 1-line block ×6, first 2 shown]
	v_fma_f64 v[23:24], v[19:20], s[6:7], v[23:24]
	v_mul_f64 v[59:60], v[7:8], s[26:27]
	v_fma_f64 v[19:20], v[19:20], s[26:27], v[9:10]
	v_fma_f64 v[29:30], v[3:4], s[18:19], v[1:2]
	;; [unrolled: 1-line block ×3, first 2 shown]
	v_fma_f64 v[61:62], v[5:6], s[18:19], -v[17:18]
	v_fma_f64 v[63:64], v[7:8], s[6:7], -v[21:22]
	;; [unrolled: 1-line block ×3, first 2 shown]
	v_add_f64 v[1:2], v[15:16], v[37:38]
	v_fma_f64 v[59:60], v[11:12], s[16:17], -v[59:60]
	v_add_f64 v[3:4], v[25:26], v[33:34]
	v_add_f64 v[5:6], v[57:58], v[23:24]
	;; [unrolled: 1-line block ×6, first 2 shown]
	v_add_f64 v[21:22], v[57:58], -v[23:24]
	v_add_f64 v[23:24], v[39:40], -v[19:20]
	v_add_f64 v[19:20], v[55:56], v[35:36]
	v_add_f64 v[13:14], v[37:38], -v[15:16]
	v_add_f64 v[15:16], v[33:34], -v[25:26]
	v_add_f64 v[25:26], v[48:49], v[63:64]
	v_add_f64 v[27:28], v[65:66], v[59:60]
	v_add_f64 v[37:38], v[48:49], -v[63:64]
	v_add_f64 v[35:36], v[55:56], -v[35:36]
	v_mul_u32_u24_e32 v48, 0x640, v43
	v_lshlrev_b32_e32 v55, 4, v50
	v_add_f64 v[29:30], v[53:54], -v[29:30]
	v_add_f64 v[31:32], v[31:32], -v[67:68]
	v_add3_u32 v48, 0, v48, v55
	s_movk_i32 s28, 0xcd
	v_add_f64 v[33:34], v[51:52], -v[61:62]
	v_add_f64 v[39:40], v[65:66], -v[59:60]
	ds_write_b128 v48, v[1:4]
	ds_write_b128 v48, v[5:8] offset:160
	ds_write_b128 v48, v[9:12] offset:320
	;; [unrolled: 1-line block ×9, first 2 shown]
	v_mul_lo_u16_e32 v1, 26, v43
	v_mul_lo_u16_sdwa v2, v44, s28 dst_sel:DWORD dst_unused:UNUSED_PAD src0_sel:BYTE_0 src1_sel:DWORD
	v_lshrrev_b16_e32 v40, 8, v1
	v_lshrrev_b16_e32 v57, 11, v2
	v_mul_lo_u16_e32 v1, 10, v40
	v_mul_lo_u16_e32 v2, 10, v57
	v_sub_u16_e32 v1, v43, v1
	v_sub_u16_e32 v5, v44, v2
	v_and_b32_e32 v56, 0xff, v1
	v_and_b32_e32 v58, 0xff, v5
	v_lshlrev_b32_e32 v1, 4, v56
	v_lshlrev_b32_e32 v5, 4, v58
	s_waitcnt lgkmcnt(0)
	s_barrier
	global_load_dwordx4 v[1:4], v1, s[14:15]
	v_cmp_gt_u64_e32 vcc, s[24:25], v[41:42]
	global_load_dwordx4 v[6:9], v5, s[14:15]
	v_mul_lo_u16_sdwa v5, v45, s28 dst_sel:DWORD dst_unused:UNUSED_PAD src0_sel:BYTE_0 src1_sel:DWORD
	v_lshrrev_b16_e32 v59, 11, v5
	v_mul_lo_u16_e32 v5, 10, v59
	v_sub_u16_e32 v5, v45, v5
	v_and_b32_e32 v60, 0xff, v5
	v_lshlrev_b32_e32 v5, 4, v60
	global_load_dwordx4 v[10:13], v5, s[14:15]
	v_mul_lo_u16_sdwa v5, v46, s28 dst_sel:DWORD dst_unused:UNUSED_PAD src0_sel:BYTE_0 src1_sel:DWORD
	v_lshrrev_b16_e32 v61, 11, v5
	v_mul_lo_u16_e32 v5, 10, v61
	v_sub_u16_e32 v5, v46, v5
	v_and_b32_e32 v62, 0xff, v5
	v_lshlrev_b32_e32 v5, 4, v62
	global_load_dwordx4 v[14:17], v5, s[14:15]
	v_mul_lo_u16_sdwa v5, v47, s28 dst_sel:DWORD dst_unused:UNUSED_PAD src0_sel:BYTE_0 src1_sel:DWORD
	v_lshrrev_b16_e32 v63, 11, v5
	v_mul_lo_u16_e32 v5, 10, v63
	v_sub_u16_e32 v5, v47, v5
	v_and_b32_e32 v64, 0xff, v5
	v_lshlrev_b32_e32 v5, 4, v64
	global_load_dwordx4 v[18:21], v5, s[14:15]
	s_movk_i32 s28, 0xfa60
	v_mad_i32_i24 v5, v43, s28, v48
	ds_read_b128 v[22:25], v5 offset:16000
	ds_read_b128 v[26:29], v5
	ds_read_b128 v[30:33], v5 offset:19200
	ds_read_b128 v[34:37], v5 offset:22400
	;; [unrolled: 1-line block ×3, first 2 shown]
	s_or_b64 s[0:1], s[0:1], vcc
	s_waitcnt vmcnt(4) lgkmcnt(4)
	v_mul_f64 v[38:39], v[24:25], v[3:4]
	v_mul_f64 v[3:4], v[22:23], v[3:4]
	s_waitcnt vmcnt(3) lgkmcnt(2)
	v_mul_f64 v[48:49], v[32:33], v[8:9]
	v_mul_f64 v[8:9], v[30:31], v[8:9]
	v_fma_f64 v[22:23], v[22:23], v[1:2], -v[38:39]
	s_waitcnt vmcnt(2) lgkmcnt(1)
	v_mul_f64 v[38:39], v[36:37], v[12:13]
	v_mul_f64 v[12:13], v[34:35], v[12:13]
	v_fma_f64 v[24:25], v[24:25], v[1:2], v[3:4]
	ds_read_b128 v[1:4], v5 offset:28800
	v_fma_f64 v[8:9], v[32:33], v[6:7], v[8:9]
	v_fma_f64 v[30:31], v[30:31], v[6:7], -v[48:49]
	v_mul_i32_i24_e32 v6, 0xa0, v44
	s_waitcnt vmcnt(1) lgkmcnt(1)
	v_mul_f64 v[32:33], v[53:54], v[16:17]
	v_mul_f64 v[16:17], v[51:52], v[16:17]
	v_mul_i32_i24_e32 v7, 0xa0, v45
	v_add3_u32 v6, 0, v6, v55
	v_fma_f64 v[34:35], v[34:35], v[10:11], -v[38:39]
	v_fma_f64 v[36:37], v[36:37], v[10:11], v[12:13]
	v_add3_u32 v7, 0, v7, v55
	s_waitcnt vmcnt(0) lgkmcnt(0)
	v_mul_f64 v[44:45], v[3:4], v[20:21]
	v_mul_f64 v[20:21], v[1:2], v[20:21]
	v_fma_f64 v[38:39], v[51:52], v[14:15], -v[32:33]
	v_fma_f64 v[48:49], v[53:54], v[14:15], v[16:17]
	ds_read_b128 v[10:13], v6
	ds_read_b128 v[14:17], v7
	v_add_f64 v[22:23], v[26:27], -v[22:23]
	v_add_f64 v[24:25], v[28:29], -v[24:25]
	s_waitcnt lgkmcnt(1)
	v_add_f64 v[32:33], v[12:13], -v[8:9]
	v_mul_i32_i24_e32 v8, 0xa0, v46
	v_add_f64 v[30:31], v[10:11], -v[30:31]
	v_add3_u32 v8, 0, v8, v55
	v_fma_f64 v[51:52], v[1:2], v[18:19], -v[44:45]
	v_fma_f64 v[53:54], v[3:4], v[18:19], v[20:21]
	ds_read_b128 v[1:4], v8
	v_mul_i32_i24_e32 v9, 0xa0, v47
	s_waitcnt lgkmcnt(1)
	v_add_f64 v[34:35], v[14:15], -v[34:35]
	v_add_f64 v[36:37], v[16:17], -v[36:37]
	v_add3_u32 v9, 0, v9, v55
	ds_read_b128 v[18:21], v9
	v_fma_f64 v[26:27], v[26:27], 2.0, -v[22:23]
	v_fma_f64 v[28:29], v[28:29], 2.0, -v[24:25]
	s_waitcnt lgkmcnt(1)
	v_add_f64 v[44:45], v[1:2], -v[38:39]
	v_add_f64 v[46:47], v[3:4], -v[48:49]
	v_fma_f64 v[10:11], v[10:11], 2.0, -v[30:31]
	v_fma_f64 v[12:13], v[12:13], 2.0, -v[32:33]
	s_waitcnt lgkmcnt(0)
	v_add_f64 v[51:52], v[18:19], -v[51:52]
	v_add_f64 v[53:54], v[20:21], -v[53:54]
	v_mad_u32_u24 v38, v40, 20, v56
	v_fma_f64 v[14:15], v[14:15], 2.0, -v[34:35]
	v_fma_f64 v[16:17], v[16:17], 2.0, -v[36:37]
	v_mul_u32_u24_e32 v38, 0xa0, v38
	v_add3_u32 v38, 0, v38, v55
	s_barrier
	ds_write_b128 v38, v[26:29]
	ds_write_b128 v38, v[22:25] offset:1600
	v_mad_u32_u24 v22, v57, 20, v58
	v_fma_f64 v[1:2], v[1:2], 2.0, -v[44:45]
	v_fma_f64 v[3:4], v[3:4], 2.0, -v[46:47]
	v_mul_u32_u24_e32 v22, 0xa0, v22
	v_add3_u32 v22, 0, v22, v55
	ds_write_b128 v22, v[10:13]
	ds_write_b128 v22, v[30:33] offset:1600
	v_mad_u32_u24 v10, v59, 20, v60
	v_fma_f64 v[18:19], v[18:19], 2.0, -v[51:52]
	v_fma_f64 v[20:21], v[20:21], 2.0, -v[53:54]
	v_mul_u32_u24_e32 v10, 0xa0, v10
	v_add3_u32 v10, 0, v10, v55
	ds_write_b128 v10, v[14:17]
	ds_write_b128 v10, v[34:37] offset:1600
	v_mad_u32_u24 v10, v61, 20, v62
	v_mul_u32_u24_e32 v10, 0xa0, v10
	v_add3_u32 v10, 0, v10, v55
	ds_write_b128 v10, v[1:4]
	ds_write_b128 v10, v[44:47] offset:1600
	v_mad_u32_u24 v1, v63, 20, v64
	v_mul_u32_u24_e32 v1, 0xa0, v1
	v_add3_u32 v1, 0, v1, v55
	ds_write_b128 v1, v[18:21]
	ds_write_b128 v1, v[51:54] offset:1600
	s_waitcnt lgkmcnt(0)
	s_barrier
	s_and_saveexec_b64 s[24:25], s[0:1]
	s_cbranch_execz .LBB0_16
; %bb.15:
	v_mul_lo_u16_e32 v1, 13, v43
	v_mov_b32_e32 v2, 20
	v_mul_lo_u16_sdwa v1, v1, v2 dst_sel:DWORD dst_unused:UNUSED_PAD src0_sel:BYTE_1 src1_sel:DWORD
	v_sub_u16_e32 v1, v43, v1
	v_and_b32_e32 v51, 0xff, v1
	v_mul_u32_u24_e32 v1, 9, v51
	v_lshlrev_b32_e32 v22, 4, v1
	global_load_dwordx4 v[1:4], v22, s[14:15] offset:176
	global_load_dwordx4 v[10:13], v22, s[14:15] offset:272
	;; [unrolled: 1-line block ×9, first 2 shown]
	v_add_u32_e32 v27, 0xb4, v51
	v_or_b32_e32 v28, 0xa0, v51
	s_load_dwordx2 s[0:1], s[4:5], 0x8
	v_mul_lo_u32 v27, v41, v27
	v_mul_lo_u32 v28, v41, v28
	v_mov_b32_e32 v52, 4
	v_mov_b32_e32 v53, 0x1000
	v_lshlrev_b32_sdwa v22, v52, v27 dst_sel:DWORD dst_unused:UNUSED_PAD src0_sel:DWORD src1_sel:BYTE_0
	v_bfe_u32 v27, v27, 8, 8
	v_lshlrev_b32_sdwa v29, v52, v28 dst_sel:DWORD dst_unused:UNUSED_PAD src0_sel:DWORD src1_sel:BYTE_0
	v_bfe_u32 v28, v28, 8, 8
	v_lshl_or_b32 v27, v27, 4, v53
	v_lshl_or_b32 v28, v28, 4, v53
	s_waitcnt lgkmcnt(0)
	global_load_dwordx4 v[62:65], v22, s[0:1]
	global_load_dwordx4 v[66:69], v27, s[0:1]
	;; [unrolled: 1-line block ×4, first 2 shown]
	ds_read_b128 v[29:32], v9
	ds_read_b128 v[78:81], v8
	ds_read_b128 v[37:40], v5 offset:19200
	ds_read_b128 v[82:85], v5 offset:22400
	ds_read_b128 v[42:45], v5 offset:25600
	ds_read_b128 v[86:89], v5 offset:28800
	ds_read_b128 v[90:93], v7
	ds_read_b128 v[94:97], v6
	v_add_u32_e32 v6, 0x8c, v51
	v_add_u32_e32 v7, 0x78, v51
	v_mul_lo_u32 v9, v41, v6
	v_mul_lo_u32 v22, v41, v7
	ds_read_b128 v[98:101], v5 offset:16000
	ds_read_b128 v[5:8], v5
	v_lshlrev_b32_sdwa v27, v52, v9 dst_sel:DWORD dst_unused:UNUSED_PAD src0_sel:DWORD src1_sel:BYTE_0
	v_bfe_u32 v9, v9, 8, 8
	v_lshlrev_b32_sdwa v28, v52, v22 dst_sel:DWORD dst_unused:UNUSED_PAD src0_sel:DWORD src1_sel:BYTE_0
	v_bfe_u32 v22, v22, 8, 8
	v_lshl_or_b32 v9, v9, 4, v53
	v_lshl_or_b32 v22, v22, 4, v53
	global_load_dwordx4 v[102:105], v27, s[0:1]
	global_load_dwordx4 v[106:109], v9, s[0:1]
	;; [unrolled: 1-line block ×4, first 2 shown]
	s_waitcnt vmcnt(14) lgkmcnt(9)
	v_mul_f64 v[27:28], v[29:30], v[16:17]
	v_mul_f64 v[16:17], v[31:32], v[16:17]
	s_waitcnt vmcnt(10) lgkmcnt(1)
	v_mul_f64 v[132:133], v[100:101], v[35:36]
	s_waitcnt vmcnt(9)
	v_mul_f64 v[136:137], v[84:85], v[56:57]
	v_mul_f64 v[118:119], v[37:38], v[25:26]
	;; [unrolled: 1-line block ×11, first 2 shown]
	s_waitcnt vmcnt(8)
	v_mul_f64 v[138:139], v[96:97], v[60:61]
	v_fma_f64 v[27:28], v[31:32], v[14:15], v[27:28]
	v_fma_f64 v[35:36], v[98:99], v[33:34], -v[132:133]
	v_fma_f64 v[31:32], v[82:83], v[54:55], -v[136:137]
	v_mul_f64 v[120:121], v[90:91], v[3:4]
	v_mul_f64 v[3:4], v[92:93], v[3:4]
	;; [unrolled: 1-line block ×3, first 2 shown]
	v_fma_f64 v[29:30], v[29:30], v[14:15], -v[16:17]
	v_fma_f64 v[21:22], v[39:40], v[23:24], v[118:119]
	v_fma_f64 v[23:24], v[37:38], v[23:24], -v[25:26]
	v_fma_f64 v[13:14], v[44:45], v[10:11], v[122:123]
	v_fma_f64 v[15:16], v[42:43], v[10:11], -v[124:125]
	v_fma_f64 v[44:45], v[78:79], v[18:19], -v[126:127]
	v_fma_f64 v[42:43], v[80:81], v[18:19], v[128:129]
	v_fma_f64 v[33:34], v[100:101], v[33:34], v[134:135]
	v_fma_f64 v[25:26], v[84:85], v[54:55], v[56:57]
	v_fma_f64 v[17:18], v[88:89], v[46:47], v[48:49]
	v_fma_f64 v[48:49], v[94:95], v[58:59], -v[138:139]
	v_add_f64 v[9:10], v[35:36], v[31:32]
	s_waitcnt vmcnt(6)
	v_mul_f64 v[140:141], v[64:65], v[68:69]
	v_mul_f64 v[68:69], v[62:63], v[68:69]
	v_fma_f64 v[39:40], v[90:91], v[1:2], -v[3:4]
	v_fma_f64 v[19:20], v[86:87], v[46:47], -v[130:131]
	v_fma_f64 v[46:47], v[96:97], v[58:59], v[60:61]
	v_add_f64 v[11:12], v[33:34], v[25:26]
	v_add_f64 v[86:87], v[42:43], -v[17:18]
	v_fma_f64 v[90:91], v[9:10], -0.5, v[48:49]
	v_fma_f64 v[37:38], v[92:93], v[1:2], v[120:121]
	v_fma_f64 v[1:2], v[62:63], v[66:67], -v[140:141]
	v_fma_f64 v[3:4], v[64:65], v[66:67], v[68:69]
	v_add_f64 v[58:59], v[44:45], -v[35:36]
	v_add_f64 v[60:61], v[19:20], -v[31:32]
	v_add_f64 v[88:89], v[44:45], -v[19:20]
	v_fma_f64 v[92:93], v[11:12], -0.5, v[46:47]
	v_add_f64 v[94:95], v[33:34], -v[25:26]
	v_add_f64 v[9:10], v[29:30], v[23:24]
	v_fma_f64 v[66:67], v[86:87], s[22:23], v[90:91]
	v_add_f64 v[54:55], v[37:38], -v[27:28]
	v_add_f64 v[56:57], v[13:14], -v[21:22]
	;; [unrolled: 1-line block ×5, first 2 shown]
	v_add_f64 v[11:12], v[27:28], v[21:22]
	v_add_f64 v[98:99], v[37:38], -v[13:14]
	v_fma_f64 v[68:69], v[88:89], s[18:19], v[92:93]
	v_add_f64 v[118:119], v[58:59], v[60:61]
	s_waitcnt lgkmcnt(0)
	v_fma_f64 v[122:123], v[9:10], -0.5, v[5:6]
	v_fma_f64 v[9:10], v[94:95], s[16:17], v[66:67]
	v_add_f64 v[58:59], v[42:43], v[17:18]
	v_add_f64 v[60:61], v[44:45], v[19:20]
	v_add_f64 v[100:101], v[39:40], -v[15:16]
	v_add_f64 v[78:79], v[39:40], -v[29:30]
	;; [unrolled: 1-line block ×3, first 2 shown]
	v_add_f64 v[120:121], v[62:63], v[64:65]
	v_fma_f64 v[124:125], v[11:12], -0.5, v[7:8]
	v_fma_f64 v[11:12], v[96:97], s[6:7], v[68:69]
	v_add_f64 v[126:127], v[27:28], -v[21:22]
	v_fma_f64 v[62:63], v[98:99], s[22:23], v[122:123]
	v_fma_f64 v[9:10], v[118:119], s[20:21], v[9:10]
	v_add_f64 v[130:131], v[54:55], v[56:57]
	v_fma_f64 v[54:55], v[58:59], -0.5, v[46:47]
	v_fma_f64 v[56:57], v[60:61], -0.5, v[48:49]
	v_add_f64 v[128:129], v[29:30], -v[23:24]
	v_fma_f64 v[64:65], v[100:101], s[18:19], v[124:125]
	v_fma_f64 v[11:12], v[120:121], s[20:21], v[11:12]
	v_add_f64 v[132:133], v[78:79], v[80:81]
	v_fma_f64 v[58:59], v[126:127], s[16:17], v[62:63]
	v_mul_f64 v[62:63], v[9:10], s[26:27]
	v_add_f64 v[66:67], v[35:36], -v[44:45]
	v_add_f64 v[68:69], v[31:32], -v[19:20]
	;; [unrolled: 1-line block ×4, first 2 shown]
	v_fma_f64 v[82:83], v[96:97], s[22:23], v[54:55]
	v_fma_f64 v[84:85], v[94:95], s[18:19], v[56:57]
	v_add_f64 v[134:135], v[39:40], v[15:16]
	v_add_f64 v[136:137], v[37:38], v[13:14]
	v_fma_f64 v[60:61], v[128:129], s[6:7], v[64:65]
	v_mul_f64 v[64:65], v[11:12], s[26:27]
	v_fma_f64 v[138:139], v[11:12], s[6:7], -v[62:63]
	v_fma_f64 v[140:141], v[132:133], s[20:21], v[58:59]
	v_add_f64 v[144:145], v[66:67], v[68:69]
	v_add_f64 v[78:79], v[78:79], v[80:81]
	v_fma_f64 v[11:12], v[88:89], s[6:7], v[82:83]
	v_fma_f64 v[58:59], v[86:87], s[16:17], v[84:85]
	v_fma_f64 v[62:63], v[134:135], -0.5, v[5:6]
	v_fma_f64 v[66:67], v[136:137], -0.5, v[7:8]
	v_add_f64 v[68:69], v[27:28], -v[37:38]
	v_add_f64 v[80:81], v[21:22], -v[13:14]
	;; [unrolled: 1-line block ×4, first 2 shown]
	v_fma_f64 v[11:12], v[78:79], s[20:21], v[11:12]
	v_fma_f64 v[58:59], v[144:145], s[20:21], v[58:59]
	;; [unrolled: 1-line block ×4, first 2 shown]
	s_waitcnt vmcnt(4)
	v_mul_f64 v[142:143], v[72:73], v[76:77]
	v_mul_f64 v[76:77], v[70:71], v[76:77]
	v_fma_f64 v[146:147], v[130:131], s[20:21], v[60:61]
	v_fma_f64 v[148:149], v[9:10], s[16:17], -v[64:65]
	v_add_f64 v[80:81], v[68:69], v[80:81]
	v_add_f64 v[82:83], v[82:83], v[84:85]
	v_mul_f64 v[9:10], v[11:12], s[20:21]
	v_mul_f64 v[60:61], v[58:59], s[20:21]
	v_fma_f64 v[64:65], v[98:99], s[16:17], v[134:135]
	v_fma_f64 v[68:69], v[100:101], s[6:7], v[136:137]
	v_fma_f64 v[70:71], v[70:71], v[74:75], -v[142:143]
	v_fma_f64 v[72:73], v[72:73], v[74:75], v[76:77]
	v_add_f64 v[74:75], v[140:141], -v[138:139]
	v_add_f64 v[76:77], v[146:147], -v[148:149]
	v_fma_f64 v[134:135], v[58:59], s[22:23], -v[9:10]
	v_fma_f64 v[136:137], v[11:12], s[18:19], -v[60:61]
	v_fma_f64 v[142:143], v[82:83], s[20:21], v[64:65]
	v_fma_f64 v[150:151], v[80:81], s[20:21], v[68:69]
	s_waitcnt vmcnt(2)
	v_mul_f64 v[9:10], v[104:105], v[108:109]
	v_mul_f64 v[11:12], v[102:103], v[108:109]
	v_mul_f64 v[64:65], v[74:75], v[3:4]
	s_waitcnt vmcnt(0)
	v_mul_f64 v[58:59], v[112:113], v[116:117]
	v_mul_f64 v[60:61], v[110:111], v[116:117]
	;; [unrolled: 1-line block ×3, first 2 shown]
	v_add_f64 v[84:85], v[142:143], -v[136:137]
	v_add_f64 v[108:109], v[150:151], -v[134:135]
	v_fma_f64 v[102:103], v[102:103], v[106:107], -v[9:10]
	v_fma_f64 v[104:105], v[104:105], v[106:107], v[11:12]
	v_fma_f64 v[3:4], v[76:77], v[1:2], v[64:65]
	v_add_u32_e32 v11, 0x64, v51
	v_mul_lo_u32 v11, v41, v11
	v_fma_f64 v[66:67], v[128:129], s[18:19], v[66:67]
	v_mul_f64 v[9:10], v[84:85], v[72:73]
	v_mul_f64 v[64:65], v[108:109], v[72:73]
	v_fma_f64 v[62:63], v[126:127], s[22:23], v[62:63]
	v_lshlrev_b32_sdwa v12, v52, v11 dst_sel:DWORD dst_unused:UNUSED_PAD src0_sel:DWORD src1_sel:BYTE_0
	v_bfe_u32 v11, v11, 8, 8
	v_fma_f64 v[106:107], v[110:111], v[114:115], -v[58:59]
	v_fma_f64 v[110:111], v[112:113], v[114:115], v[60:61]
	v_fma_f64 v[1:2], v[74:75], v[1:2], -v[68:69]
	v_fma_f64 v[68:69], v[96:97], s[18:19], v[54:55]
	v_fma_f64 v[72:73], v[94:95], s[22:23], v[56:57]
	v_lshl_or_b32 v11, v11, 4, v53
	global_load_dwordx4 v[54:57], v12, s[0:1]
	global_load_dwordx4 v[58:61], v11, s[0:1]
	v_fma_f64 v[11:12], v[108:109], v[70:71], v[9:10]
	v_fma_f64 v[9:10], v[84:85], v[70:71], -v[64:65]
	v_add_u32_e32 v64, 0x50, v51
	v_mul_lo_u32 v64, v41, v64
	v_fma_f64 v[70:71], v[100:101], s[16:17], v[66:67]
	v_fma_f64 v[76:77], v[98:99], s[6:7], v[62:63]
	;; [unrolled: 1-line block ×3, first 2 shown]
	v_bfe_u32 v63, v64, 8, 8
	v_lshlrev_b32_sdwa v62, v52, v64 dst_sel:DWORD dst_unused:UNUSED_PAD src0_sel:DWORD src1_sel:BYTE_0
	v_lshl_or_b32 v66, v63, 4, v53
	global_load_dwordx4 v[62:65], v62, s[0:1]
	s_nop 0
	global_load_dwordx4 v[66:69], v66, s[0:1]
	v_fma_f64 v[72:73], v[86:87], s[6:7], v[72:73]
	v_fma_f64 v[108:109], v[80:81], s[20:21], v[70:71]
	v_add_u32_e32 v70, 60, v51
	v_mul_lo_u32 v70, v41, v70
	v_fma_f64 v[112:113], v[78:79], s[20:21], v[74:75]
	v_fma_f64 v[116:117], v[82:83], s[20:21], v[76:77]
	;; [unrolled: 1-line block ×3, first 2 shown]
	v_lshlrev_b32_sdwa v71, v52, v70 dst_sel:DWORD dst_unused:UNUSED_PAD src0_sel:DWORD src1_sel:BYTE_0
	v_bfe_u32 v70, v70, 8, 8
	v_fma_f64 v[114:115], v[144:145], s[20:21], v[72:73]
	v_add_u32_e32 v72, 40, v51
	v_lshl_or_b32 v74, v70, 4, v53
	v_mul_lo_u32 v78, v41, v72
	global_load_dwordx4 v[70:73], v71, s[0:1]
	s_nop 0
	global_load_dwordx4 v[74:77], v74, s[0:1]
	v_add_u32_e32 v144, 20, v51
	v_mul_lo_u32 v156, v41, v144
	v_lshlrev_b32_sdwa v79, v52, v78 dst_sel:DWORD dst_unused:UNUSED_PAD src0_sel:DWORD src1_sel:BYTE_0
	v_bfe_u32 v78, v78, 8, 8
	v_lshl_or_b32 v82, v78, 4, v53
	global_load_dwordx4 v[78:81], v79, s[0:1]
	s_nop 0
	global_load_dwordx4 v[82:85], v82, s[0:1]
	v_fma_f64 v[144:145], v[86:87], s[18:19], v[90:91]
	v_bfe_u32 v87, v156, 8, 8
	v_lshlrev_b32_sdwa v86, v52, v156 dst_sel:DWORD dst_unused:UNUSED_PAD src0_sel:DWORD src1_sel:BYTE_0
	v_lshl_or_b32 v90, v87, 4, v53
	global_load_dwordx4 v[86:89], v86, s[0:1]
	s_nop 0
	global_load_dwordx4 v[90:93], v90, s[0:1]
	v_mul_lo_u32 v41, v41, v51
	v_fma_f64 v[124:125], v[100:101], s[22:23], v[124:125]
	v_fma_f64 v[122:123], v[98:99], s[18:19], v[122:123]
	;; [unrolled: 1-line block ×3, first 2 shown]
	v_lshlrev_b32_sdwa v52, v52, v41 dst_sel:DWORD dst_unused:UNUSED_PAD src0_sel:DWORD src1_sel:BYTE_0
	v_bfe_u32 v41, v41, 8, 8
	v_fma_f64 v[154:155], v[96:97], s[16:17], v[154:155]
	v_lshl_or_b32 v41, v41, 4, v53
	global_load_dwordx4 v[94:97], v52, s[0:1]
	global_load_dwordx4 v[98:101], v41, s[0:1]
	v_mul_f64 v[152:153], v[112:113], s[18:19]
	v_add_f64 v[7:8], v[7:8], v[37:38]
	v_add_f64 v[5:6], v[5:6], v[39:40]
	;; [unrolled: 1-line block ×4, first 2 shown]
	v_fma_f64 v[39:40], v[120:121], s[20:21], v[154:155]
	v_fma_f64 v[44:45], v[128:129], s[16:17], v[124:125]
	;; [unrolled: 1-line block ×4, first 2 shown]
	v_mul_f64 v[114:115], v[114:115], s[22:23]
	v_add_f64 v[7:8], v[7:8], v[27:28]
	v_add_f64 v[5:6], v[5:6], v[29:30]
	;; [unrolled: 1-line block ×3, first 2 shown]
	v_mul_f64 v[29:30], v[39:40], s[6:7]
	v_add_f64 v[33:34], v[41:42], v[33:34]
	v_fma_f64 v[35:36], v[130:131], s[20:21], v[44:45]
	v_fma_f64 v[37:38], v[132:133], s[20:21], v[46:47]
	;; [unrolled: 1-line block ×4, first 2 shown]
	v_add_f64 v[7:8], v[7:8], v[21:22]
	v_add_f64 v[5:6], v[5:6], v[23:24]
	;; [unrolled: 1-line block ×3, first 2 shown]
	v_add_f64 v[23:24], v[116:117], -v[152:153]
	v_add_f64 v[25:26], v[33:34], v[25:26]
	v_mul_f64 v[48:49], v[112:113], s[16:17]
	v_fma_f64 v[27:28], v[112:113], s[26:27], v[29:30]
	v_add_f64 v[29:30], v[108:109], -v[52:53]
	v_add_f64 v[33:34], v[7:8], v[13:14]
	v_add_f64 v[41:42], v[5:6], v[15:16]
	v_add_f64 v[43:44], v[21:22], v[19:20]
	v_mul_f64 v[7:8], v[23:24], v[104:105]
	v_add_f64 v[25:26], v[25:26], v[17:18]
	v_fma_f64 v[39:40], v[39:40], s[26:27], v[48:49]
	s_waitcnt vmcnt(10)
	v_mul_f64 v[31:32], v[54:55], v[60:61]
	v_mul_f64 v[5:6], v[56:57], v[60:61]
	;; [unrolled: 1-line block ×3, first 2 shown]
	v_add_f64 v[17:18], v[37:38], -v[27:28]
	v_add_f64 v[21:22], v[41:42], -v[43:44]
	v_fma_f64 v[7:8], v[29:30], v[102:103], v[7:8]
	v_add_f64 v[52:53], v[108:109], v[52:53]
	v_add_f64 v[19:20], v[35:36], -v[39:40]
	v_fma_f64 v[15:16], v[56:57], v[58:59], v[31:32]
	v_fma_f64 v[31:32], v[54:55], v[58:59], -v[5:6]
	s_waitcnt vmcnt(8)
	v_mul_f64 v[29:30], v[62:63], v[68:69]
	v_fma_f64 v[5:6], v[23:24], v[102:103], -v[13:14]
	v_add_f64 v[23:24], v[33:34], -v[25:26]
	v_mul_f64 v[13:14], v[17:18], v[110:111]
	v_add_f64 v[54:55], v[140:141], v[138:139]
	v_mul_f64 v[45:46], v[19:20], v[110:111]
	v_mul_f64 v[47:48], v[21:22], v[15:16]
	;; [unrolled: 1-line block ×3, first 2 shown]
	v_fma_f64 v[29:30], v[64:65], v[66:67], v[29:30]
	v_add_f64 v[58:59], v[146:147], v[148:149]
	v_mul_f64 v[60:61], v[23:24], v[15:16]
	v_fma_f64 v[15:16], v[19:20], v[106:107], v[13:14]
	v_add_f64 v[64:65], v[116:117], v[152:153]
	v_fma_f64 v[13:14], v[17:18], v[106:107], -v[45:46]
	s_waitcnt vmcnt(6)
	v_mul_f64 v[45:46], v[70:71], v[76:77]
	v_fma_f64 v[19:20], v[23:24], v[31:32], v[47:48]
	v_fma_f64 v[47:48], v[62:63], v[66:67], -v[56:57]
	v_mul_f64 v[23:24], v[54:55], v[29:30]
	v_mul_f64 v[29:30], v[58:59], v[29:30]
	;; [unrolled: 1-line block ×3, first 2 shown]
	v_fma_f64 v[17:18], v[21:22], v[31:32], -v[60:61]
	s_waitcnt vmcnt(4)
	v_mul_f64 v[60:61], v[78:79], v[84:85]
	v_fma_f64 v[31:32], v[72:73], v[74:75], v[45:46]
	v_add_f64 v[45:46], v[142:143], v[136:137]
	v_mul_f64 v[62:63], v[80:81], v[84:85]
	v_fma_f64 v[23:24], v[58:59], v[47:48], v[23:24]
	v_fma_f64 v[21:22], v[54:55], v[47:48], -v[29:30]
	s_waitcnt vmcnt(2)
	v_mul_f64 v[54:55], v[86:87], v[92:93]
	v_fma_f64 v[29:30], v[70:71], v[74:75], -v[56:57]
	v_add_f64 v[56:57], v[150:151], v[134:135]
	v_fma_f64 v[60:61], v[80:81], v[82:83], v[60:61]
	v_mul_f64 v[58:59], v[45:46], v[31:32]
	v_add_f64 v[35:36], v[35:36], v[39:40]
	v_fma_f64 v[47:48], v[78:79], v[82:83], -v[62:63]
	s_waitcnt vmcnt(0)
	v_mul_f64 v[39:40], v[94:95], v[100:101]
	v_mul_f64 v[62:63], v[88:89], v[92:93]
	v_add_f64 v[37:38], v[37:38], v[27:28]
	v_fma_f64 v[54:55], v[88:89], v[90:91], v[54:55]
	v_mul_f64 v[31:32], v[56:57], v[31:32]
	v_fma_f64 v[27:28], v[56:57], v[29:30], v[58:59]
	v_mul_f64 v[58:59], v[64:65], v[60:61]
	v_mul_f64 v[60:61], v[52:53], v[60:61]
	v_add_f64 v[41:42], v[41:42], v[43:44]
	v_fma_f64 v[39:40], v[96:97], v[98:99], v[39:40]
	v_add_f64 v[43:44], v[33:34], v[25:26]
	v_fma_f64 v[56:57], v[86:87], v[90:91], -v[62:63]
	v_mul_f64 v[62:63], v[37:38], v[54:55]
	v_mul_f64 v[54:55], v[35:36], v[54:55]
	;; [unrolled: 1-line block ×3, first 2 shown]
	v_fma_f64 v[25:26], v[45:46], v[29:30], -v[31:32]
	v_fma_f64 v[31:32], v[52:53], v[47:48], v[58:59]
	v_mad_u64_u32 v[52:53], s[0:1], s10, v50, 0
	s_movk_i32 s0, 0x148
	v_fma_f64 v[29:30], v[64:65], v[47:48], -v[60:61]
	v_mul_f64 v[45:46], v[41:42], v[39:40]
	v_mul_f64 v[47:48], v[43:44], v[39:40]
	v_mul_u32_u24_sdwa v39, v0, s0 dst_sel:DWORD dst_unused:UNUSED_PAD src0_sel:WORD_0 src1_sel:DWORD
	s_movk_i32 s0, 0xc8
	v_mul_lo_u16_sdwa v39, v39, s0 dst_sel:DWORD dst_unused:UNUSED_PAD src0_sel:WORD_1 src1_sel:DWORD
	v_sub_u16_e32 v39, v0, v39
	v_fma_f64 v[33:34], v[37:38], v[56:57], -v[54:55]
	v_fma_f64 v[37:38], v[94:95], v[98:99], -v[66:67]
	v_sub_u32_e32 v0, v0, v39
	v_fma_f64 v[35:36], v[35:36], v[56:57], v[62:63]
	v_add_u32_e32 v56, v0, v51
	v_mad_u64_u32 v[54:55], s[0:1], s8, v56, 0
	v_mov_b32_e32 v0, v53
	v_mad_u64_u32 v[49:50], s[0:1], s11, v50, v[0:1]
	v_mov_b32_e32 v0, v55
	v_mad_u64_u32 v[50:51], s[0:1], s9, v56, v[0:1]
	v_fma_f64 v[39:40], v[43:44], v[37:38], v[45:46]
	v_fma_f64 v[37:38], v[41:42], v[37:38], -v[47:48]
	v_mov_b32_e32 v53, v49
	s_lshl_b64 s[0:1], s[2:3], 4
	s_add_u32 s2, s12, s0
	v_lshlrev_b64 v[41:42], 4, v[52:53]
	s_addc_u32 s0, s13, s1
	v_mov_b32_e32 v55, v50
	v_mov_b32_e32 v0, s0
	v_add_co_u32_e32 v46, vcc, s2, v41
	v_add_u32_e32 v45, 20, v56
	v_addc_co_u32_e32 v47, vcc, v0, v42, vcc
	v_lshlrev_b64 v[41:42], 4, v[54:55]
	v_mad_u64_u32 v[43:44], s[0:1], s8, v45, 0
	v_add_co_u32_e32 v41, vcc, v46, v41
	v_addc_co_u32_e32 v42, vcc, v47, v42, vcc
	global_store_dwordx4 v[41:42], v[37:40], off
	v_add_u32_e32 v41, 40, v56
	v_mov_b32_e32 v0, v44
	v_mad_u64_u32 v[39:40], s[0:1], s8, v41, 0
	v_mad_u64_u32 v[44:45], s[0:1], s9, v45, v[0:1]
	v_mov_b32_e32 v0, v40
	v_mad_u64_u32 v[40:41], s[0:1], s9, v41, v[0:1]
	v_lshlrev_b64 v[37:38], 4, v[43:44]
	v_add_u32_e32 v43, 60, v56
	v_add_co_u32_e32 v37, vcc, v46, v37
	v_addc_co_u32_e32 v38, vcc, v47, v38, vcc
	v_mad_u64_u32 v[41:42], s[0:1], s8, v43, 0
	global_store_dwordx4 v[37:38], v[33:36], off
	v_mov_b32_e32 v0, v42
	v_lshlrev_b64 v[33:34], 4, v[39:40]
	v_mad_u64_u32 v[35:36], s[0:1], s9, v43, v[0:1]
	v_add_co_u32_e32 v33, vcc, v46, v33
	v_addc_co_u32_e32 v34, vcc, v47, v34, vcc
	global_store_dwordx4 v[33:34], v[29:32], off
	v_add_u32_e32 v33, 0x50, v56
	v_mad_u64_u32 v[31:32], s[0:1], s8, v33, 0
	v_mov_b32_e32 v42, v35
	v_lshlrev_b64 v[29:30], 4, v[41:42]
	v_mov_b32_e32 v0, v32
	v_mad_u64_u32 v[32:33], s[0:1], s9, v33, v[0:1]
	v_add_co_u32_e32 v29, vcc, v46, v29
	v_addc_co_u32_e32 v30, vcc, v47, v30, vcc
	v_add_u32_e32 v35, 0x64, v56
	v_mad_u64_u32 v[33:34], s[0:1], s8, v35, 0
	global_store_dwordx4 v[29:30], v[25:28], off
	v_mov_b32_e32 v0, v34
	v_lshlrev_b64 v[25:26], 4, v[31:32]
	v_mad_u64_u32 v[27:28], s[0:1], s9, v35, v[0:1]
	v_add_co_u32_e32 v25, vcc, v46, v25
	v_addc_co_u32_e32 v26, vcc, v47, v26, vcc
	global_store_dwordx4 v[25:26], v[21:24], off
	v_add_u32_e32 v25, 0x78, v56
	v_mad_u64_u32 v[23:24], s[0:1], s8, v25, 0
	v_mov_b32_e32 v34, v27
	v_lshlrev_b64 v[21:22], 4, v[33:34]
	v_mov_b32_e32 v0, v24
	v_mad_u64_u32 v[24:25], s[0:1], s9, v25, v[0:1]
	v_add_co_u32_e32 v21, vcc, v46, v21
	v_addc_co_u32_e32 v22, vcc, v47, v22, vcc
	v_add_u32_e32 v27, 0x8c, v56
	global_store_dwordx4 v[21:22], v[17:20], off
	v_mad_u64_u32 v[25:26], s[0:1], s8, v27, 0
	v_lshlrev_b64 v[17:18], 4, v[23:24]
	v_add_co_u32_e32 v17, vcc, v46, v17
	v_addc_co_u32_e32 v18, vcc, v47, v18, vcc
	global_store_dwordx4 v[17:18], v[13:16], off
	v_add_u32_e32 v17, 0xa0, v56
	v_mov_b32_e32 v0, v26
	v_mad_u64_u32 v[15:16], s[0:1], s8, v17, 0
	v_mad_u64_u32 v[19:20], s[0:1], s9, v27, v[0:1]
	v_mov_b32_e32 v0, v16
	v_mad_u64_u32 v[16:17], s[0:1], s9, v17, v[0:1]
	v_mov_b32_e32 v26, v19
	v_add_u32_e32 v19, 0xb4, v56
	v_mad_u64_u32 v[17:18], s[0:1], s8, v19, 0
	v_lshlrev_b64 v[13:14], 4, v[25:26]
	v_add_co_u32_e32 v13, vcc, v46, v13
	v_addc_co_u32_e32 v14, vcc, v47, v14, vcc
	v_mov_b32_e32 v0, v18
	global_store_dwordx4 v[13:14], v[5:8], off
	s_nop 0
	v_mad_u64_u32 v[7:8], s[0:1], s9, v19, v[0:1]
	v_lshlrev_b64 v[5:6], 4, v[15:16]
	v_add_co_u32_e32 v5, vcc, v46, v5
	v_addc_co_u32_e32 v6, vcc, v47, v6, vcc
	v_mov_b32_e32 v18, v7
	global_store_dwordx4 v[5:6], v[9:12], off
	v_lshlrev_b64 v[5:6], 4, v[17:18]
	v_add_co_u32_e32 v5, vcc, v46, v5
	v_addc_co_u32_e32 v6, vcc, v47, v6, vcc
	global_store_dwordx4 v[5:6], v[1:4], off
.LBB0_16:
	s_endpgm
	.section	.rodata,"a",@progbits
	.p2align	6, 0x0
	.amdhsa_kernel fft_rtc_fwd_len200_factors_10_2_10_wgs_200_tpt_20_dim3_dp_ip_CI_sbcc_twdbase8_2step_dirReg
		.amdhsa_group_segment_fixed_size 0
		.amdhsa_private_segment_fixed_size 0
		.amdhsa_kernarg_size 88
		.amdhsa_user_sgpr_count 6
		.amdhsa_user_sgpr_private_segment_buffer 1
		.amdhsa_user_sgpr_dispatch_ptr 0
		.amdhsa_user_sgpr_queue_ptr 0
		.amdhsa_user_sgpr_kernarg_segment_ptr 1
		.amdhsa_user_sgpr_dispatch_id 0
		.amdhsa_user_sgpr_flat_scratch_init 0
		.amdhsa_user_sgpr_private_segment_size 0
		.amdhsa_uses_dynamic_stack 0
		.amdhsa_system_sgpr_private_segment_wavefront_offset 0
		.amdhsa_system_sgpr_workgroup_id_x 1
		.amdhsa_system_sgpr_workgroup_id_y 0
		.amdhsa_system_sgpr_workgroup_id_z 0
		.amdhsa_system_sgpr_workgroup_info 0
		.amdhsa_system_vgpr_workitem_id 0
		.amdhsa_next_free_vgpr 157
		.amdhsa_next_free_sgpr 29
		.amdhsa_reserve_vcc 1
		.amdhsa_reserve_flat_scratch 0
		.amdhsa_float_round_mode_32 0
		.amdhsa_float_round_mode_16_64 0
		.amdhsa_float_denorm_mode_32 3
		.amdhsa_float_denorm_mode_16_64 3
		.amdhsa_dx10_clamp 1
		.amdhsa_ieee_mode 1
		.amdhsa_fp16_overflow 0
		.amdhsa_exception_fp_ieee_invalid_op 0
		.amdhsa_exception_fp_denorm_src 0
		.amdhsa_exception_fp_ieee_div_zero 0
		.amdhsa_exception_fp_ieee_overflow 0
		.amdhsa_exception_fp_ieee_underflow 0
		.amdhsa_exception_fp_ieee_inexact 0
		.amdhsa_exception_int_div_zero 0
	.end_amdhsa_kernel
	.text
.Lfunc_end0:
	.size	fft_rtc_fwd_len200_factors_10_2_10_wgs_200_tpt_20_dim3_dp_ip_CI_sbcc_twdbase8_2step_dirReg, .Lfunc_end0-fft_rtc_fwd_len200_factors_10_2_10_wgs_200_tpt_20_dim3_dp_ip_CI_sbcc_twdbase8_2step_dirReg
                                        ; -- End function
	.section	.AMDGPU.csdata,"",@progbits
; Kernel info:
; codeLenInByte = 8068
; NumSgprs: 33
; NumVgprs: 157
; ScratchSize: 0
; MemoryBound: 1
; FloatMode: 240
; IeeeMode: 1
; LDSByteSize: 0 bytes/workgroup (compile time only)
; SGPRBlocks: 4
; VGPRBlocks: 39
; NumSGPRsForWavesPerEU: 33
; NumVGPRsForWavesPerEU: 157
; Occupancy: 1
; WaveLimiterHint : 1
; COMPUTE_PGM_RSRC2:SCRATCH_EN: 0
; COMPUTE_PGM_RSRC2:USER_SGPR: 6
; COMPUTE_PGM_RSRC2:TRAP_HANDLER: 0
; COMPUTE_PGM_RSRC2:TGID_X_EN: 1
; COMPUTE_PGM_RSRC2:TGID_Y_EN: 0
; COMPUTE_PGM_RSRC2:TGID_Z_EN: 0
; COMPUTE_PGM_RSRC2:TIDIG_COMP_CNT: 0
	.type	__hip_cuid_701b5f69a4ec3d3e,@object ; @__hip_cuid_701b5f69a4ec3d3e
	.section	.bss,"aw",@nobits
	.globl	__hip_cuid_701b5f69a4ec3d3e
__hip_cuid_701b5f69a4ec3d3e:
	.byte	0                               ; 0x0
	.size	__hip_cuid_701b5f69a4ec3d3e, 1

	.ident	"AMD clang version 19.0.0git (https://github.com/RadeonOpenCompute/llvm-project roc-6.4.0 25133 c7fe45cf4b819c5991fe208aaa96edf142730f1d)"
	.section	".note.GNU-stack","",@progbits
	.addrsig
	.addrsig_sym __hip_cuid_701b5f69a4ec3d3e
	.amdgpu_metadata
---
amdhsa.kernels:
  - .args:
      - .actual_access:  read_only
        .address_space:  global
        .offset:         0
        .size:           8
        .value_kind:     global_buffer
      - .address_space:  global
        .offset:         8
        .size:           8
        .value_kind:     global_buffer
      - .actual_access:  read_only
        .address_space:  global
        .offset:         16
        .size:           8
        .value_kind:     global_buffer
      - .actual_access:  read_only
        .address_space:  global
        .offset:         24
        .size:           8
        .value_kind:     global_buffer
      - .offset:         32
        .size:           8
        .value_kind:     by_value
      - .actual_access:  read_only
        .address_space:  global
        .offset:         40
        .size:           8
        .value_kind:     global_buffer
      - .actual_access:  read_only
        .address_space:  global
        .offset:         48
        .size:           8
        .value_kind:     global_buffer
      - .offset:         56
        .size:           4
        .value_kind:     by_value
      - .actual_access:  read_only
        .address_space:  global
        .offset:         64
        .size:           8
        .value_kind:     global_buffer
      - .actual_access:  read_only
        .address_space:  global
        .offset:         72
        .size:           8
        .value_kind:     global_buffer
      - .address_space:  global
        .offset:         80
        .size:           8
        .value_kind:     global_buffer
    .group_segment_fixed_size: 0
    .kernarg_segment_align: 8
    .kernarg_segment_size: 88
    .language:       OpenCL C
    .language_version:
      - 2
      - 0
    .max_flat_workgroup_size: 200
    .name:           fft_rtc_fwd_len200_factors_10_2_10_wgs_200_tpt_20_dim3_dp_ip_CI_sbcc_twdbase8_2step_dirReg
    .private_segment_fixed_size: 0
    .sgpr_count:     33
    .sgpr_spill_count: 0
    .symbol:         fft_rtc_fwd_len200_factors_10_2_10_wgs_200_tpt_20_dim3_dp_ip_CI_sbcc_twdbase8_2step_dirReg.kd
    .uniform_work_group_size: 1
    .uses_dynamic_stack: false
    .vgpr_count:     157
    .vgpr_spill_count: 0
    .wavefront_size: 64
amdhsa.target:   amdgcn-amd-amdhsa--gfx906
amdhsa.version:
  - 1
  - 2
...

	.end_amdgpu_metadata
